;; amdgpu-corpus repo=ROCm/hip-tests kind=compiled arch=gfx906 opt=O3
	.amdgcn_target "amdgcn-amd-amdhsa--gfx906"
	.amdhsa_code_object_version 6
	.text
	.protected	_Z12write_kernelP8d_uint16mS_ ; -- Begin function _Z12write_kernelP8d_uint16mS_
	.globl	_Z12write_kernelP8d_uint16mS_
	.p2align	8
	.type	_Z12write_kernelP8d_uint16mS_,@function
_Z12write_kernelP8d_uint16mS_:          ; @_Z12write_kernelP8d_uint16mS_
; %bb.0:
	s_load_dword s7, s[4:5], 0x5c
	s_load_dwordx4 s[0:3], s[4:5], 0x0
	s_add_u32 s8, s4, 0x50
	s_addc_u32 s9, s5, 0
	v_mov_b32_e32 v17, 0
	s_waitcnt lgkmcnt(0)
	s_and_b32 s10, s7, 0xffff
	s_mul_i32 s6, s6, s10
	v_add_u32_e32 v16, s6, v0
	v_cmp_gt_u64_e32 vcc, s[2:3], v[16:17]
	s_and_saveexec_b64 s[6:7], vcc
	s_cbranch_execz .LBB0_3
; %bb.1:
	s_add_u32 s4, s4, 16
	s_load_dword s6, s[8:9], 0x0
	s_addc_u32 s5, s5, 0
	s_load_dwordx8 s[12:19], s[4:5], 0x0
	s_load_dwordx8 s[20:27], s[4:5], 0x20
	v_lshlrev_b64 v[0:1], 6, v[16:17]
	s_mov_b32 s7, 0
	s_waitcnt lgkmcnt(0)
	s_mul_i32 s6, s6, s10
	v_mov_b32_e32 v2, s1
	v_add_co_u32_e32 v18, vcc, s0, v0
	v_addc_co_u32_e32 v19, vcc, v2, v1, vcc
	s_lshl_b64 s[4:5], s[6:7], 6
	v_mov_b32_e32 v0, s12
	v_mov_b32_e32 v4, s16
	;; [unrolled: 1-line block ×4, first 2 shown]
	s_mov_b64 s[8:9], 0
	v_mov_b32_e32 v1, s13
	v_mov_b32_e32 v2, s14
	;; [unrolled: 1-line block ×13, first 2 shown]
.LBB0_2:                                ; =>This Inner Loop Header: Depth=1
	v_add_co_u32_e32 v16, vcc, s6, v16
	v_addc_co_u32_e32 v17, vcc, 0, v17, vcc
	v_cmp_le_u64_e64 s[0:1], s[2:3], v[16:17]
	global_store_dwordx4 v[18:19], v[0:3], off
	global_store_dwordx4 v[18:19], v[4:7], off offset:16
	global_store_dwordx4 v[18:19], v[8:11], off offset:32
	;; [unrolled: 1-line block ×3, first 2 shown]
	v_add_co_u32_e32 v18, vcc, s4, v18
	s_or_b64 s[8:9], s[0:1], s[8:9]
	v_addc_co_u32_e32 v19, vcc, v19, v20, vcc
	s_andn2_b64 exec, exec, s[8:9]
	s_cbranch_execnz .LBB0_2
.LBB0_3:
	s_endpgm
	.section	.rodata,"a",@progbits
	.p2align	6, 0x0
	.amdhsa_kernel _Z12write_kernelP8d_uint16mS_
		.amdhsa_group_segment_fixed_size 0
		.amdhsa_private_segment_fixed_size 0
		.amdhsa_kernarg_size 336
		.amdhsa_user_sgpr_count 6
		.amdhsa_user_sgpr_private_segment_buffer 1
		.amdhsa_user_sgpr_dispatch_ptr 0
		.amdhsa_user_sgpr_queue_ptr 0
		.amdhsa_user_sgpr_kernarg_segment_ptr 1
		.amdhsa_user_sgpr_dispatch_id 0
		.amdhsa_user_sgpr_flat_scratch_init 0
		.amdhsa_user_sgpr_private_segment_size 0
		.amdhsa_uses_dynamic_stack 0
		.amdhsa_system_sgpr_private_segment_wavefront_offset 0
		.amdhsa_system_sgpr_workgroup_id_x 1
		.amdhsa_system_sgpr_workgroup_id_y 0
		.amdhsa_system_sgpr_workgroup_id_z 0
		.amdhsa_system_sgpr_workgroup_info 0
		.amdhsa_system_vgpr_workitem_id 0
		.amdhsa_next_free_vgpr 21
		.amdhsa_next_free_sgpr 28
		.amdhsa_reserve_vcc 1
		.amdhsa_reserve_flat_scratch 0
		.amdhsa_float_round_mode_32 0
		.amdhsa_float_round_mode_16_64 0
		.amdhsa_float_denorm_mode_32 3
		.amdhsa_float_denorm_mode_16_64 3
		.amdhsa_dx10_clamp 1
		.amdhsa_ieee_mode 1
		.amdhsa_fp16_overflow 0
		.amdhsa_exception_fp_ieee_invalid_op 0
		.amdhsa_exception_fp_denorm_src 0
		.amdhsa_exception_fp_ieee_div_zero 0
		.amdhsa_exception_fp_ieee_overflow 0
		.amdhsa_exception_fp_ieee_underflow 0
		.amdhsa_exception_fp_ieee_inexact 0
		.amdhsa_exception_int_div_zero 0
	.end_amdhsa_kernel
	.text
.Lfunc_end0:
	.size	_Z12write_kernelP8d_uint16mS_, .Lfunc_end0-_Z12write_kernelP8d_uint16mS_
                                        ; -- End function
	.set _Z12write_kernelP8d_uint16mS_.num_vgpr, 21
	.set _Z12write_kernelP8d_uint16mS_.num_agpr, 0
	.set _Z12write_kernelP8d_uint16mS_.numbered_sgpr, 28
	.set _Z12write_kernelP8d_uint16mS_.num_named_barrier, 0
	.set _Z12write_kernelP8d_uint16mS_.private_seg_size, 0
	.set _Z12write_kernelP8d_uint16mS_.uses_vcc, 1
	.set _Z12write_kernelP8d_uint16mS_.uses_flat_scratch, 0
	.set _Z12write_kernelP8d_uint16mS_.has_dyn_sized_stack, 0
	.set _Z12write_kernelP8d_uint16mS_.has_recursion, 0
	.set _Z12write_kernelP8d_uint16mS_.has_indirect_call, 0
	.section	.AMDGPU.csdata,"",@progbits
; Kernel info:
; codeLenInByte = 276
; TotalNumSgprs: 32
; NumVgprs: 21
; ScratchSize: 0
; MemoryBound: 0
; FloatMode: 240
; IeeeMode: 1
; LDSByteSize: 0 bytes/workgroup (compile time only)
; SGPRBlocks: 3
; VGPRBlocks: 5
; NumSGPRsForWavesPerEU: 32
; NumVGPRsForWavesPerEU: 21
; Occupancy: 10
; WaveLimiterHint : 0
; COMPUTE_PGM_RSRC2:SCRATCH_EN: 0
; COMPUTE_PGM_RSRC2:USER_SGPR: 6
; COMPUTE_PGM_RSRC2:TRAP_HANDLER: 0
; COMPUTE_PGM_RSRC2:TGID_X_EN: 1
; COMPUTE_PGM_RSRC2:TGID_Y_EN: 0
; COMPUTE_PGM_RSRC2:TGID_Z_EN: 0
; COMPUTE_PGM_RSRC2:TIDIG_COMP_CNT: 0
	.section	.AMDGPU.gpr_maximums,"",@progbits
	.set amdgpu.max_num_vgpr, 0
	.set amdgpu.max_num_agpr, 0
	.set amdgpu.max_num_sgpr, 0
	.section	.AMDGPU.csdata,"",@progbits
	.type	__hip_cuid_9c5b7e23e74d5f8d,@object ; @__hip_cuid_9c5b7e23e74d5f8d
	.section	.bss,"aw",@nobits
	.globl	__hip_cuid_9c5b7e23e74d5f8d
__hip_cuid_9c5b7e23e74d5f8d:
	.byte	0                               ; 0x0
	.size	__hip_cuid_9c5b7e23e74d5f8d, 1

	.ident	"AMD clang version 22.0.0git (https://github.com/RadeonOpenCompute/llvm-project roc-7.2.4 26084 f58b06dce1f9c15707c5f808fd002e18c2accf7e)"
	.section	".note.GNU-stack","",@progbits
	.addrsig
	.addrsig_sym __hip_cuid_9c5b7e23e74d5f8d
	.amdgpu_metadata
---
amdhsa.kernels:
  - .args:
      - .address_space:  global
        .offset:         0
        .size:           8
        .value_kind:     global_buffer
      - .offset:         8
        .size:           8
        .value_kind:     by_value
      - .offset:         16
        .size:           64
        .value_kind:     by_value
      - .offset:         80
        .size:           4
        .value_kind:     hidden_block_count_x
      - .offset:         84
        .size:           4
        .value_kind:     hidden_block_count_y
      - .offset:         88
        .size:           4
        .value_kind:     hidden_block_count_z
      - .offset:         92
        .size:           2
        .value_kind:     hidden_group_size_x
      - .offset:         94
        .size:           2
        .value_kind:     hidden_group_size_y
      - .offset:         96
        .size:           2
        .value_kind:     hidden_group_size_z
      - .offset:         98
        .size:           2
        .value_kind:     hidden_remainder_x
      - .offset:         100
        .size:           2
        .value_kind:     hidden_remainder_y
      - .offset:         102
        .size:           2
        .value_kind:     hidden_remainder_z
      - .offset:         120
        .size:           8
        .value_kind:     hidden_global_offset_x
      - .offset:         128
        .size:           8
        .value_kind:     hidden_global_offset_y
      - .offset:         136
        .size:           8
        .value_kind:     hidden_global_offset_z
      - .offset:         144
        .size:           2
        .value_kind:     hidden_grid_dims
    .group_segment_fixed_size: 0
    .kernarg_segment_align: 8
    .kernarg_segment_size: 336
    .language:       OpenCL C
    .language_version:
      - 2
      - 0
    .max_flat_workgroup_size: 1024
    .name:           _Z12write_kernelP8d_uint16mS_
    .private_segment_fixed_size: 0
    .sgpr_count:     32
    .sgpr_spill_count: 0
    .symbol:         _Z12write_kernelP8d_uint16mS_.kd
    .uniform_work_group_size: 1
    .uses_dynamic_stack: false
    .vgpr_count:     21
    .vgpr_spill_count: 0
    .wavefront_size: 64
amdhsa.target:   amdgcn-amd-amdhsa--gfx906
amdhsa.version:
  - 1
  - 2
...

	.end_amdgpu_metadata
